;; amdgpu-corpus repo=ROCm/rocFFT kind=compiled arch=gfx1100 opt=O3
	.text
	.amdgcn_target "amdgcn-amd-amdhsa--gfx1100"
	.amdhsa_code_object_version 6
	.protected	bluestein_single_fwd_len343_dim1_dp_op_CI_CI ; -- Begin function bluestein_single_fwd_len343_dim1_dp_op_CI_CI
	.globl	bluestein_single_fwd_len343_dim1_dp_op_CI_CI
	.p2align	8
	.type	bluestein_single_fwd_len343_dim1_dp_op_CI_CI,@function
bluestein_single_fwd_len343_dim1_dp_op_CI_CI: ; @bluestein_single_fwd_len343_dim1_dp_op_CI_CI
; %bb.0:
	s_load_b128 s[16:19], s[0:1], 0x28
	v_mul_u32_u24_e32 v1, 0x53a, v0
	s_mov_b32 s2, exec_lo
	s_delay_alu instid0(VALU_DEP_1) | instskip(NEXT) | instid1(VALU_DEP_1)
	v_lshrrev_b32_e32 v1, 16, v1
	v_mad_u64_u32 v[76:77], null, s15, 5, v[1:2]
	v_mov_b32_e32 v77, 0
	s_waitcnt lgkmcnt(0)
	s_delay_alu instid0(VALU_DEP_1)
	v_cmpx_gt_u64_e64 s[16:17], v[76:77]
	s_cbranch_execz .LBB0_2
; %bb.1:
	s_clause 0x1
	s_load_b128 s[4:7], s[0:1], 0x18
	s_load_b128 s[8:11], s[0:1], 0x0
	v_mul_lo_u16 v1, v1, 49
	v_mul_hi_u32 v80, 0xcccccccd, v76
	s_mov_b32 s16, 0xaaaaaaaa
	s_mov_b32 s22, 0xb247c609
	;; [unrolled: 1-line block ×3, first 2 shown]
	v_sub_nc_u16 v28, v0, v1
	s_mov_b32 s23, 0x3fd5d0dc
	s_mov_b32 s29, 0x3febfeb5
	;; [unrolled: 1-line block ×4, first 2 shown]
	v_and_b32_e32 v79, 0xffff, v28
	s_mov_b32 s24, s22
	s_mov_b32 s27, 0x3fdc38aa
	;; [unrolled: 1-line block ×3, first 2 shown]
	s_load_b64 s[0:1], s[0:1], 0x38
	s_waitcnt lgkmcnt(0)
	s_load_b128 s[12:15], s[4:5], 0x0
	s_waitcnt lgkmcnt(0)
	v_mad_u64_u32 v[8:9], null, s12, v79, 0
	v_mad_u64_u32 v[0:1], null, s14, v76, 0
	s_mul_hi_u32 s3, s12, 0x310
	s_mul_i32 s4, s12, 0x310
	s_mov_b32 s12, 0xe976ee23
	s_delay_alu instid0(VALU_DEP_2) | instskip(NEXT) | instid1(VALU_DEP_1)
	v_dual_mov_b32 v2, v9 :: v_dual_lshlrev_b32 v75, 4, v79
	v_mad_u64_u32 v[3:4], null, s15, v76, v[1:2]
	s_delay_alu instid0(VALU_DEP_2) | instskip(NEXT) | instid1(VALU_DEP_1)
	v_add_co_u32 v81, s2, s8, v75
	v_add_co_ci_u32_e64 v82, null, s9, 0, s2
	s_mul_i32 s2, s13, 0x310
	s_mov_b32 s14, 0x36b3c0b5
	s_delay_alu instid0(VALU_DEP_3) | instskip(SKIP_4) | instid1(VALU_DEP_1)
	v_mad_u64_u32 v[4:5], null, s13, v79, v[2:3]
	v_mov_b32_e32 v1, v3
	s_add_i32 s3, s3, s2
	s_mov_b32 s13, 0xbfe11646
	s_mov_b32 s15, 0x3fac98ee
	v_lshlrev_b64 v[10:11], 4, v[0:1]
	s_delay_alu instid0(VALU_DEP_3)
	v_mov_b32_e32 v9, v4
	s_clause 0x1
	global_load_b128 v[0:3], v75, s[8:9]
	global_load_b128 v[4:7], v75, s[8:9] offset:784
	v_add_co_u32 v10, vcc_lo, s18, v10
	v_lshlrev_b64 v[8:9], 4, v[8:9]
	v_add_co_ci_u32_e32 v11, vcc_lo, s19, v11, vcc_lo
	s_mov_b32 s18, 0x5476071b
	s_mov_b32 s19, 0x3fe77f67
	;; [unrolled: 1-line block ×3, first 2 shown]
	s_delay_alu instid0(VALU_DEP_2)
	v_add_co_u32 v16, vcc_lo, v10, v8
	v_add_co_ci_u32_e32 v17, vcc_lo, v11, v9, vcc_lo
	s_clause 0x1
	global_load_b128 v[8:11], v75, s[8:9] offset:1568
	global_load_b128 v[12:15], v75, s[8:9] offset:2352
	v_add_co_u32 v18, vcc_lo, v16, s4
	v_add_co_ci_u32_e32 v19, vcc_lo, s3, v17, vcc_lo
	global_load_b128 v[29:32], v[16:17], off
	v_add_co_u32 v20, vcc_lo, v18, s4
	v_add_co_ci_u32_e32 v21, vcc_lo, s3, v19, vcc_lo
	v_add_co_u32 v77, vcc_lo, 0x1000, v81
	v_add_co_ci_u32_e32 v78, vcc_lo, 0, v82, vcc_lo
	s_delay_alu instid0(VALU_DEP_4) | instskip(NEXT) | instid1(VALU_DEP_4)
	v_add_co_u32 v22, vcc_lo, v20, s4
	v_add_co_ci_u32_e32 v23, vcc_lo, s3, v21, vcc_lo
	s_clause 0x1
	global_load_b128 v[33:36], v[18:19], off
	global_load_b128 v[37:40], v[20:21], off
	v_add_co_u32 v16, vcc_lo, v22, s4
	v_add_co_ci_u32_e32 v17, vcc_lo, s3, v23, vcc_lo
	s_clause 0x1
	global_load_b128 v[41:44], v[22:23], off
	global_load_b128 v[45:48], v[16:17], off
	v_add_co_u32 v24, vcc_lo, v16, s4
	v_add_co_ci_u32_e32 v25, vcc_lo, s3, v17, vcc_lo
	s_delay_alu instid0(VALU_DEP_2) | instskip(NEXT) | instid1(VALU_DEP_2)
	v_add_co_u32 v53, vcc_lo, v24, s4
	v_add_co_ci_u32_e32 v54, vcc_lo, s3, v25, vcc_lo
	s_clause 0x1
	global_load_b128 v[20:23], v75, s[8:9] offset:3136
	global_load_b128 v[16:19], v75, s[8:9] offset:3920
	global_load_b128 v[49:52], v[24:25], off
	global_load_b128 v[24:27], v[77:78], off offset:608
	global_load_b128 v[53:56], v[53:54], off
	s_load_b128 s[4:7], s[6:7], 0x0
	s_mov_b32 s8, 0x37e14327
	s_mov_b32 s9, 0x3fe948f6
	;; [unrolled: 1-line block ×5, first 2 shown]
	s_waitcnt vmcnt(9)
	v_mul_f64 v[57:58], v[31:32], v[2:3]
	v_mul_f64 v[59:60], v[29:30], v[2:3]
	s_waitcnt vmcnt(8)
	v_mul_f64 v[61:62], v[35:36], v[6:7]
	v_mul_f64 v[63:64], v[33:34], v[6:7]
	;; [unrolled: 3-line block ×7, first 2 shown]
	v_fma_f64 v[29:30], v[29:30], v[0:1], v[57:58]
	v_fma_f64 v[31:32], v[31:32], v[0:1], -v[59:60]
	v_fma_f64 v[33:34], v[33:34], v[4:5], v[61:62]
	v_fma_f64 v[35:36], v[35:36], v[4:5], -v[63:64]
	;; [unrolled: 2-line block ×7, first 2 shown]
	v_lshrrev_b32_e32 v49, 2, v80
	s_delay_alu instid0(VALU_DEP_1) | instskip(NEXT) | instid1(VALU_DEP_1)
	v_lshl_add_u32 v49, v49, 2, v49
	v_sub_nc_u32_e32 v49, v76, v49
	s_delay_alu instid0(VALU_DEP_1) | instskip(NEXT) | instid1(VALU_DEP_1)
	v_mul_u32_u24_e32 v49, 0x157, v49
	v_lshlrev_b32_e32 v52, 4, v49
	s_delay_alu instid0(VALU_DEP_1)
	v_add_nc_u32_e32 v80, v75, v52
	ds_store_b128 v80, v[29:32]
	ds_store_b128 v80, v[33:36] offset:784
	ds_store_b128 v80, v[37:40] offset:1568
	;; [unrolled: 1-line block ×6, first 2 shown]
	s_waitcnt lgkmcnt(0)
	s_barrier
	buffer_gl0_inv
	ds_load_b128 v[29:32], v80 offset:784
	ds_load_b128 v[33:36], v80 offset:4704
	ds_load_b128 v[37:40], v80 offset:3920
	ds_load_b128 v[41:44], v80 offset:1568
	ds_load_b128 v[45:48], v80 offset:2352
	ds_load_b128 v[53:56], v80 offset:3136
	s_waitcnt lgkmcnt(4)
	v_add_f64 v[49:50], v[29:30], v[33:34]
	v_add_f64 v[57:58], v[31:32], v[35:36]
	s_waitcnt lgkmcnt(2)
	v_add_f64 v[59:60], v[41:42], v[37:38]
	v_add_f64 v[61:62], v[43:44], v[39:40]
	v_add_f64 v[37:38], v[41:42], -v[37:38]
	v_add_f64 v[39:40], v[43:44], -v[39:40]
	s_waitcnt lgkmcnt(0)
	v_add_f64 v[41:42], v[45:46], v[53:54]
	v_add_f64 v[43:44], v[47:48], v[55:56]
	v_add_f64 v[45:46], v[53:54], -v[45:46]
	v_add_f64 v[47:48], v[55:56], -v[47:48]
	;; [unrolled: 1-line block ×4, first 2 shown]
	v_add_f64 v[29:30], v[59:60], v[49:50]
	v_add_f64 v[31:32], v[61:62], v[57:58]
	v_add_f64 v[53:54], v[49:50], -v[41:42]
	v_add_f64 v[55:56], v[57:58], -v[43:44]
	;; [unrolled: 1-line block ×6, first 2 shown]
	v_add_f64 v[37:38], v[45:46], v[37:38]
	v_add_f64 v[39:40], v[47:48], v[39:40]
	v_add_f64 v[45:46], v[33:34], -v[45:46]
	v_add_f64 v[47:48], v[35:36], -v[47:48]
	;; [unrolled: 1-line block ×4, first 2 shown]
	v_add_f64 v[71:72], v[41:42], v[29:30]
	v_add_f64 v[73:74], v[43:44], v[31:32]
	v_add_f64 v[41:42], v[41:42], -v[59:60]
	v_add_f64 v[43:44], v[43:44], -v[61:62]
	ds_load_b128 v[29:32], v80
	v_mul_f64 v[53:54], v[53:54], s[8:9]
	v_mul_f64 v[55:56], v[55:56], s[8:9]
	;; [unrolled: 1-line block ×6, first 2 shown]
	v_add_f64 v[33:34], v[37:38], v[33:34]
	v_add_f64 v[35:36], v[39:40], v[35:36]
	s_waitcnt lgkmcnt(0)
	s_barrier
	buffer_gl0_inv
	v_add_f64 v[29:30], v[29:30], v[71:72]
	v_add_f64 v[31:32], v[31:32], v[73:74]
	v_mul_f64 v[59:60], v[41:42], s[14:15]
	v_mul_f64 v[61:62], v[43:44], s[14:15]
	v_fma_f64 v[37:38], v[41:42], s[14:15], v[53:54]
	v_fma_f64 v[39:40], v[43:44], s[14:15], v[55:56]
	;; [unrolled: 1-line block ×4, first 2 shown]
	v_fma_f64 v[63:64], v[67:68], s[28:29], -v[63:64]
	v_fma_f64 v[65:66], v[69:70], s[28:29], -v[65:66]
	v_fma_f64 v[45:46], v[45:46], s[24:25], v[83:84]
	v_fma_f64 v[47:48], v[47:48], s[24:25], v[85:86]
	v_fma_f64 v[53:54], v[49:50], s[20:21], -v[53:54]
	v_fma_f64 v[55:56], v[57:58], s[20:21], -v[55:56]
	v_fma_f64 v[67:68], v[71:72], s[16:17], v[29:30]
	v_fma_f64 v[69:70], v[73:74], s[16:17], v[31:32]
	;; [unrolled: 4-line block ×3, first 2 shown]
	v_fma_f64 v[63:64], v[33:34], s[26:27], v[63:64]
	v_fma_f64 v[65:66], v[35:36], s[26:27], v[65:66]
	;; [unrolled: 1-line block ×4, first 2 shown]
	v_and_b32_e32 v33, 0xff, v28
	s_delay_alu instid0(VALU_DEP_1) | instskip(NEXT) | instid1(VALU_DEP_1)
	v_mul_lo_u16 v33, v33, 37
	v_lshrrev_b16 v33, 8, v33
	s_delay_alu instid0(VALU_DEP_1) | instskip(NEXT) | instid1(VALU_DEP_1)
	v_sub_nc_u16 v34, v28, v33
	v_lshrrev_b16 v34, 1, v34
	v_add_f64 v[83:84], v[37:38], v[67:68]
	v_add_f64 v[85:86], v[39:40], v[69:70]
	;; [unrolled: 1-line block ×6, first 2 shown]
	v_and_b32_e32 v34, 0x7f, v34
	s_delay_alu instid0(VALU_DEP_1) | instskip(NEXT) | instid1(VALU_DEP_1)
	v_add_nc_u16 v49, v34, v33
	v_lshrrev_b16 v75, 2, v49
	s_delay_alu instid0(VALU_DEP_1) | instskip(NEXT) | instid1(VALU_DEP_1)
	v_mul_lo_u16 v49, v75, 7
	v_sub_nc_u16 v49, v28, v49
	v_mul_lo_u16 v28, v28, 7
	s_delay_alu instid0(VALU_DEP_1)
	v_and_b32_e32 v28, 0xffff, v28
	v_add_f64 v[33:34], v[83:84], v[61:62]
	v_add_f64 v[35:36], v[85:86], -v[59:60]
	v_add_f64 v[37:38], v[53:54], v[73:74]
	v_add_f64 v[39:40], v[55:56], -v[71:72]
	v_add_f64 v[41:42], v[45:46], -v[65:66]
	v_add_f64 v[43:44], v[63:64], v[47:48]
	v_add_f64 v[45:46], v[45:46], v[65:66]
	v_add_f64 v[47:48], v[47:48], -v[63:64]
	v_add_f64 v[53:54], v[53:54], -v[73:74]
	v_add_f64 v[55:56], v[71:72], v[55:56]
	v_add_f64 v[57:58], v[83:84], -v[61:62]
	v_add_f64 v[59:60], v[59:60], v[85:86]
	v_and_b32_e32 v83, 0xff, v49
	v_lshl_add_u32 v84, v28, 4, v52
	ds_store_b128 v84, v[29:32]
	ds_store_b128 v84, v[33:36] offset:16
	ds_store_b128 v84, v[37:40] offset:32
	;; [unrolled: 1-line block ×6, first 2 shown]
	v_mul_u32_u24_e32 v49, 6, v83
	s_waitcnt lgkmcnt(0)
	s_barrier
	buffer_gl0_inv
	v_lshlrev_b32_e32 v61, 4, v49
	s_clause 0x5
	global_load_b128 v[32:35], v61, s[10:11]
	global_load_b128 v[28:31], v61, s[10:11] offset:16
	global_load_b128 v[36:39], v61, s[10:11] offset:80
	;; [unrolled: 1-line block ×5, first 2 shown]
	ds_load_b128 v[53:56], v80 offset:784
	ds_load_b128 v[57:60], v80 offset:1568
	ds_load_b128 v[61:64], v80 offset:4704
	ds_load_b128 v[65:68], v80 offset:3920
	ds_load_b128 v[69:72], v80 offset:2352
	ds_load_b128 v[85:88], v80 offset:3136
	s_waitcnt vmcnt(5) lgkmcnt(5)
	v_mul_f64 v[73:74], v[55:56], v[34:35]
	v_mul_f64 v[89:90], v[53:54], v[34:35]
	s_waitcnt vmcnt(4) lgkmcnt(4)
	v_mul_f64 v[91:92], v[59:60], v[30:31]
	v_mul_f64 v[93:94], v[57:58], v[30:31]
	;; [unrolled: 3-line block ×6, first 2 shown]
	v_fma_f64 v[53:54], v[53:54], v[32:33], -v[73:74]
	v_fma_f64 v[55:56], v[55:56], v[32:33], v[89:90]
	v_fma_f64 v[57:58], v[57:58], v[28:29], -v[91:92]
	v_fma_f64 v[59:60], v[59:60], v[28:29], v[93:94]
	;; [unrolled: 2-line block ×6, first 2 shown]
	v_add_f64 v[87:88], v[53:54], v[61:62]
	v_add_f64 v[89:90], v[55:56], v[63:64]
	;; [unrolled: 1-line block ×4, first 2 shown]
	v_add_f64 v[57:58], v[57:58], -v[65:66]
	v_add_f64 v[59:60], v[59:60], -v[67:68]
	v_add_f64 v[65:66], v[69:70], v[73:74]
	v_add_f64 v[67:68], v[71:72], v[85:86]
	v_add_f64 v[69:70], v[73:74], -v[69:70]
	v_add_f64 v[71:72], v[85:86], -v[71:72]
	;; [unrolled: 1-line block ×4, first 2 shown]
	v_add_f64 v[53:54], v[91:92], v[87:88]
	v_add_f64 v[55:56], v[93:94], v[89:90]
	v_add_f64 v[73:74], v[87:88], -v[65:66]
	v_add_f64 v[85:86], v[89:90], -v[67:68]
	;; [unrolled: 1-line block ×6, first 2 shown]
	v_add_f64 v[57:58], v[69:70], v[57:58]
	v_add_f64 v[59:60], v[71:72], v[59:60]
	v_add_f64 v[69:70], v[61:62], -v[69:70]
	v_add_f64 v[71:72], v[63:64], -v[71:72]
	;; [unrolled: 1-line block ×4, first 2 shown]
	v_add_f64 v[103:104], v[65:66], v[53:54]
	v_add_f64 v[105:106], v[67:68], v[55:56]
	v_add_f64 v[65:66], v[65:66], -v[91:92]
	v_add_f64 v[67:68], v[67:68], -v[93:94]
	ds_load_b128 v[53:56], v80
	v_mul_f64 v[73:74], v[73:74], s[8:9]
	v_mul_f64 v[85:86], v[85:86], s[8:9]
	;; [unrolled: 1-line block ×6, first 2 shown]
	v_add_f64 v[57:58], v[57:58], v[61:62]
	v_add_f64 v[59:60], v[59:60], v[63:64]
	s_waitcnt lgkmcnt(0)
	s_barrier
	buffer_gl0_inv
	v_add_f64 v[53:54], v[53:54], v[103:104]
	v_add_f64 v[55:56], v[55:56], v[105:106]
	v_mul_f64 v[91:92], v[65:66], s[14:15]
	v_mul_f64 v[93:94], v[67:68], s[14:15]
	v_fma_f64 v[61:62], v[65:66], s[14:15], v[73:74]
	v_fma_f64 v[63:64], v[67:68], s[14:15], v[85:86]
	;; [unrolled: 1-line block ×4, first 2 shown]
	v_fma_f64 v[95:96], v[99:100], s[28:29], -v[95:96]
	v_fma_f64 v[97:98], v[101:102], s[28:29], -v[97:98]
	v_fma_f64 v[69:70], v[69:70], s[24:25], v[107:108]
	v_fma_f64 v[71:72], v[71:72], s[24:25], v[109:110]
	v_fma_f64 v[73:74], v[87:88], s[20:21], -v[73:74]
	v_fma_f64 v[85:86], v[89:90], s[20:21], -v[85:86]
	v_fma_f64 v[99:100], v[103:104], s[16:17], v[53:54]
	v_fma_f64 v[101:102], v[105:106], s[16:17], v[55:56]
	;; [unrolled: 4-line block ×3, first 2 shown]
	v_fma_f64 v[95:96], v[57:58], s[26:27], v[95:96]
	v_fma_f64 v[97:98], v[59:60], s[26:27], v[97:98]
	v_fma_f64 v[103:104], v[57:58], s[26:27], v[69:70]
	v_fma_f64 v[105:106], v[59:60], s[26:27], v[71:72]
	v_add_f64 v[107:108], v[61:62], v[99:100]
	v_add_f64 v[109:110], v[63:64], v[101:102]
	;; [unrolled: 1-line block ×7, first 2 shown]
	v_add_f64 v[59:60], v[109:110], -v[91:92]
	v_add_f64 v[61:62], v[105:106], v[73:74]
	v_add_f64 v[63:64], v[111:112], -v[103:104]
	v_add_f64 v[65:66], v[69:70], -v[97:98]
	v_add_f64 v[67:68], v[95:96], v[71:72]
	v_add_f64 v[69:70], v[97:98], v[69:70]
	v_add_f64 v[71:72], v[71:72], -v[95:96]
	v_add_f64 v[85:86], v[73:74], -v[105:106]
	v_add_f64 v[87:88], v[103:104], v[111:112]
	v_add_f64 v[89:90], v[107:108], -v[93:94]
	v_add_f64 v[91:92], v[91:92], v[109:110]
	v_and_b32_e32 v73, 0xffff, v75
	v_mad_u64_u32 v[93:94], null, 0x60, v79, s[10:11]
	s_delay_alu instid0(VALU_DEP_2) | instskip(NEXT) | instid1(VALU_DEP_1)
	v_mul_u32_u24_e32 v73, 49, v73
	v_add_nc_u32_e32 v73, v73, v83
	s_delay_alu instid0(VALU_DEP_1)
	v_lshl_add_u32 v83, v73, 4, v52
	ds_store_b128 v83, v[53:56]
	ds_store_b128 v83, v[57:60] offset:112
	ds_store_b128 v83, v[61:64] offset:224
	;; [unrolled: 1-line block ×6, first 2 shown]
	s_waitcnt lgkmcnt(0)
	s_barrier
	buffer_gl0_inv
	s_clause 0x5
	global_load_b128 v[56:59], v[93:94], off offset:672
	global_load_b128 v[52:55], v[93:94], off offset:688
	;; [unrolled: 1-line block ×6, first 2 shown]
	ds_load_b128 v[85:88], v80 offset:784
	ds_load_b128 v[89:92], v80 offset:1568
	;; [unrolled: 1-line block ×6, first 2 shown]
	s_waitcnt vmcnt(5) lgkmcnt(5)
	v_mul_f64 v[109:110], v[87:88], v[58:59]
	v_mul_f64 v[111:112], v[85:86], v[58:59]
	s_waitcnt vmcnt(4) lgkmcnt(4)
	v_mul_f64 v[113:114], v[91:92], v[54:55]
	v_mul_f64 v[115:116], v[89:90], v[54:55]
	s_waitcnt vmcnt(3) lgkmcnt(3)
	v_mul_f64 v[117:118], v[95:96], v[62:63]
	v_mul_f64 v[119:120], v[93:94], v[62:63]
	s_waitcnt vmcnt(2) lgkmcnt(2)
	v_mul_f64 v[121:122], v[99:100], v[74:75]
	v_mul_f64 v[123:124], v[97:98], v[74:75]
	s_waitcnt vmcnt(1) lgkmcnt(1)
	v_mul_f64 v[125:126], v[103:104], v[70:71]
	v_mul_f64 v[127:128], v[101:102], v[70:71]
	s_waitcnt vmcnt(0) lgkmcnt(0)
	v_mul_f64 v[129:130], v[107:108], v[66:67]
	v_mul_f64 v[131:132], v[105:106], v[66:67]
	v_fma_f64 v[85:86], v[85:86], v[56:57], -v[109:110]
	v_fma_f64 v[87:88], v[87:88], v[56:57], v[111:112]
	v_fma_f64 v[89:90], v[89:90], v[52:53], -v[113:114]
	v_fma_f64 v[91:92], v[91:92], v[52:53], v[115:116]
	;; [unrolled: 2-line block ×6, first 2 shown]
	v_add_f64 v[109:110], v[85:86], v[93:94]
	v_add_f64 v[111:112], v[87:88], v[95:96]
	;; [unrolled: 1-line block ×4, first 2 shown]
	v_add_f64 v[89:90], v[89:90], -v[97:98]
	v_add_f64 v[91:92], v[91:92], -v[99:100]
	v_add_f64 v[97:98], v[101:102], v[105:106]
	v_add_f64 v[99:100], v[103:104], v[107:108]
	v_add_f64 v[101:102], v[105:106], -v[101:102]
	v_add_f64 v[103:104], v[107:108], -v[103:104]
	;; [unrolled: 1-line block ×4, first 2 shown]
	v_add_f64 v[85:86], v[113:114], v[109:110]
	v_add_f64 v[87:88], v[115:116], v[111:112]
	v_add_f64 v[105:106], v[109:110], -v[97:98]
	v_add_f64 v[107:108], v[111:112], -v[99:100]
	;; [unrolled: 1-line block ×6, first 2 shown]
	v_add_f64 v[89:90], v[101:102], v[89:90]
	v_add_f64 v[91:92], v[103:104], v[91:92]
	v_add_f64 v[101:102], v[93:94], -v[101:102]
	v_add_f64 v[103:104], v[95:96], -v[103:104]
	v_add_f64 v[109:110], v[113:114], -v[109:110]
	v_add_f64 v[111:112], v[115:116], -v[111:112]
	v_add_f64 v[125:126], v[97:98], v[85:86]
	v_add_f64 v[127:128], v[99:100], v[87:88]
	v_add_f64 v[97:98], v[97:98], -v[113:114]
	v_add_f64 v[99:100], v[99:100], -v[115:116]
	ds_load_b128 v[85:88], v80
	v_mul_f64 v[105:106], v[105:106], s[8:9]
	v_mul_f64 v[107:108], v[107:108], s[8:9]
	;; [unrolled: 1-line block ×6, first 2 shown]
	v_add_f64 v[89:90], v[89:90], v[93:94]
	v_add_f64 v[91:92], v[91:92], v[95:96]
	s_mov_b32 s13, 0x3fe11646
	s_waitcnt lgkmcnt(0)
	v_add_f64 v[85:86], v[85:86], v[125:126]
	v_add_f64 v[87:88], v[87:88], v[127:128]
	v_mul_f64 v[113:114], v[97:98], s[14:15]
	v_mul_f64 v[115:116], v[99:100], s[14:15]
	v_fma_f64 v[93:94], v[97:98], s[14:15], v[105:106]
	v_fma_f64 v[95:96], v[99:100], s[14:15], v[107:108]
	;; [unrolled: 1-line block ×4, first 2 shown]
	v_fma_f64 v[117:118], v[121:122], s[28:29], -v[117:118]
	v_fma_f64 v[119:120], v[123:124], s[28:29], -v[119:120]
	v_fma_f64 v[101:102], v[101:102], s[24:25], v[129:130]
	v_fma_f64 v[103:104], v[103:104], s[24:25], v[131:132]
	v_fma_f64 v[105:106], v[109:110], s[20:21], -v[105:106]
	v_fma_f64 v[107:108], v[111:112], s[20:21], -v[107:108]
	v_fma_f64 v[121:122], v[125:126], s[16:17], v[85:86]
	v_fma_f64 v[123:124], v[127:128], s[16:17], v[87:88]
	;; [unrolled: 4-line block ×3, first 2 shown]
	v_fma_f64 v[117:118], v[89:90], s[26:27], v[117:118]
	v_fma_f64 v[119:120], v[91:92], s[26:27], v[119:120]
	;; [unrolled: 1-line block ×4, first 2 shown]
	s_mov_b32 s27, 0xbfdc38aa
	v_add_f64 v[129:130], v[93:94], v[121:122]
	v_add_f64 v[131:132], v[95:96], v[123:124]
	;; [unrolled: 1-line block ×7, first 2 shown]
	v_add_f64 v[91:92], v[131:132], -v[113:114]
	v_add_f64 v[93:94], v[127:128], v[105:106]
	v_add_f64 v[95:96], v[107:108], -v[125:126]
	v_add_f64 v[97:98], v[101:102], -v[119:120]
	v_add_f64 v[99:100], v[117:118], v[103:104]
	v_add_f64 v[101:102], v[119:120], v[101:102]
	v_add_f64 v[103:104], v[103:104], -v[117:118]
	v_add_f64 v[105:106], v[105:106], -v[127:128]
	v_add_f64 v[107:108], v[125:126], v[107:108]
	v_add_f64 v[109:110], v[129:130], -v[115:116]
	v_add_f64 v[111:112], v[113:114], v[131:132]
	v_add_co_u32 v113, vcc_lo, 0x1570, v81
	v_add_co_ci_u32_e32 v114, vcc_lo, 0, v82, vcc_lo
	ds_store_b128 v80, v[85:88]
	ds_store_b128 v80, v[89:92] offset:784
	ds_store_b128 v80, v[93:96] offset:1568
	;; [unrolled: 1-line block ×6, first 2 shown]
	s_waitcnt lgkmcnt(0)
	s_barrier
	buffer_gl0_inv
	s_clause 0x3
	global_load_b128 v[85:88], v[77:78], off offset:1392
	global_load_b128 v[89:92], v[113:114], off offset:784
	;; [unrolled: 1-line block ×4, first 2 shown]
	v_add_co_u32 v77, vcc_lo, 0x2000, v81
	v_add_co_ci_u32_e32 v78, vcc_lo, 0, v82, vcc_lo
	s_clause 0x2
	global_load_b128 v[101:104], v[113:114], off offset:3136
	global_load_b128 v[105:108], v[113:114], off offset:3920
	;; [unrolled: 1-line block ×3, first 2 shown]
	ds_load_b128 v[113:116], v80
	ds_load_b128 v[117:120], v80 offset:784
	ds_load_b128 v[121:124], v80 offset:1568
	;; [unrolled: 1-line block ×6, first 2 shown]
	s_waitcnt vmcnt(6) lgkmcnt(6)
	v_mul_f64 v[77:78], v[115:116], v[87:88]
	v_mul_f64 v[81:82], v[113:114], v[87:88]
	s_waitcnt vmcnt(5) lgkmcnt(5)
	v_mul_f64 v[87:88], v[119:120], v[91:92]
	v_mul_f64 v[91:92], v[117:118], v[91:92]
	;; [unrolled: 3-line block ×7, first 2 shown]
	v_fma_f64 v[111:112], v[113:114], v[85:86], -v[77:78]
	v_fma_f64 v[113:114], v[115:116], v[85:86], v[81:82]
	v_fma_f64 v[85:86], v[117:118], v[89:90], -v[87:88]
	v_fma_f64 v[87:88], v[119:120], v[89:90], v[91:92]
	v_fma_f64 v[89:90], v[121:122], v[93:94], -v[141:142]
	v_fma_f64 v[91:92], v[123:124], v[93:94], v[95:96]
	v_fma_f64 v[93:94], v[125:126], v[97:98], -v[143:144]
	v_fma_f64 v[95:96], v[127:128], v[97:98], v[99:100]
	v_fma_f64 v[97:98], v[129:130], v[101:102], -v[145:146]
	v_fma_f64 v[99:100], v[131:132], v[101:102], v[103:104]
	v_fma_f64 v[101:102], v[133:134], v[105:106], -v[147:148]
	v_fma_f64 v[103:104], v[135:136], v[105:106], v[107:108]
	v_fma_f64 v[105:106], v[137:138], v[109:110], -v[149:150]
	v_fma_f64 v[107:108], v[139:140], v[109:110], v[151:152]
	ds_store_b128 v80, v[111:114]
	ds_store_b128 v80, v[85:88] offset:784
	ds_store_b128 v80, v[89:92] offset:1568
	;; [unrolled: 1-line block ×6, first 2 shown]
	s_waitcnt lgkmcnt(0)
	s_barrier
	buffer_gl0_inv
	ds_load_b128 v[85:88], v80 offset:784
	ds_load_b128 v[89:92], v80 offset:4704
	;; [unrolled: 1-line block ×6, first 2 shown]
	s_waitcnt lgkmcnt(4)
	v_add_f64 v[77:78], v[85:86], v[89:90]
	v_add_f64 v[81:82], v[87:88], v[91:92]
	s_waitcnt lgkmcnt(2)
	v_add_f64 v[109:110], v[97:98], v[93:94]
	v_add_f64 v[111:112], v[99:100], v[95:96]
	v_add_f64 v[93:94], v[97:98], -v[93:94]
	v_add_f64 v[95:96], v[99:100], -v[95:96]
	s_waitcnt lgkmcnt(0)
	v_add_f64 v[97:98], v[101:102], v[105:106]
	v_add_f64 v[99:100], v[103:104], v[107:108]
	v_add_f64 v[101:102], v[105:106], -v[101:102]
	v_add_f64 v[103:104], v[107:108], -v[103:104]
	;; [unrolled: 1-line block ×4, first 2 shown]
	v_add_f64 v[85:86], v[109:110], v[77:78]
	v_add_f64 v[87:88], v[111:112], v[81:82]
	v_add_f64 v[105:106], v[77:78], -v[97:98]
	v_add_f64 v[107:108], v[81:82], -v[99:100]
	;; [unrolled: 1-line block ×6, first 2 shown]
	v_add_f64 v[93:94], v[101:102], v[93:94]
	v_add_f64 v[95:96], v[103:104], v[95:96]
	v_add_f64 v[101:102], v[89:90], -v[101:102]
	v_add_f64 v[103:104], v[91:92], -v[103:104]
	;; [unrolled: 1-line block ×4, first 2 shown]
	v_add_f64 v[121:122], v[97:98], v[85:86]
	v_add_f64 v[123:124], v[99:100], v[87:88]
	v_add_f64 v[97:98], v[97:98], -v[109:110]
	v_add_f64 v[99:100], v[99:100], -v[111:112]
	ds_load_b128 v[85:88], v80
	v_mul_f64 v[105:106], v[105:106], s[8:9]
	v_mul_f64 v[107:108], v[107:108], s[8:9]
	;; [unrolled: 1-line block ×6, first 2 shown]
	v_add_f64 v[89:90], v[93:94], v[89:90]
	v_add_f64 v[91:92], v[95:96], v[91:92]
	s_waitcnt lgkmcnt(0)
	s_barrier
	buffer_gl0_inv
	v_add_f64 v[85:86], v[85:86], v[121:122]
	v_add_f64 v[87:88], v[87:88], v[123:124]
	v_mul_f64 v[109:110], v[97:98], s[14:15]
	v_mul_f64 v[111:112], v[99:100], s[14:15]
	v_fma_f64 v[93:94], v[97:98], s[14:15], v[105:106]
	v_fma_f64 v[95:96], v[99:100], s[14:15], v[107:108]
	;; [unrolled: 1-line block ×4, first 2 shown]
	v_fma_f64 v[113:114], v[117:118], s[2:3], -v[113:114]
	v_fma_f64 v[115:116], v[119:120], s[2:3], -v[115:116]
	v_fma_f64 v[101:102], v[101:102], s[22:23], v[125:126]
	v_fma_f64 v[103:104], v[103:104], s[22:23], v[127:128]
	v_fma_f64 v[105:106], v[77:78], s[20:21], -v[105:106]
	v_fma_f64 v[107:108], v[81:82], s[20:21], -v[107:108]
	v_fma_f64 v[117:118], v[121:122], s[16:17], v[85:86]
	v_fma_f64 v[119:120], v[123:124], s[16:17], v[87:88]
	;; [unrolled: 4-line block ×3, first 2 shown]
	v_fma_f64 v[113:114], v[89:90], s[26:27], v[113:114]
	v_fma_f64 v[115:116], v[91:92], s[26:27], v[115:116]
	;; [unrolled: 1-line block ×4, first 2 shown]
	v_add_f64 v[125:126], v[93:94], v[117:118]
	v_add_f64 v[127:128], v[95:96], v[119:120]
	;; [unrolled: 1-line block ×7, first 2 shown]
	v_add_f64 v[91:92], v[127:128], -v[111:112]
	v_add_f64 v[93:94], v[105:106], v[123:124]
	v_add_f64 v[95:96], v[107:108], -v[121:122]
	v_add_f64 v[97:98], v[77:78], -v[115:116]
	v_add_f64 v[99:100], v[113:114], v[81:82]
	v_add_f64 v[101:102], v[77:78], v[115:116]
	v_add_f64 v[103:104], v[81:82], -v[113:114]
	v_add_f64 v[105:106], v[105:106], -v[123:124]
	v_add_f64 v[107:108], v[121:122], v[107:108]
	v_add_f64 v[109:110], v[125:126], -v[109:110]
	v_add_f64 v[111:112], v[111:112], v[127:128]
	ds_store_b128 v84, v[85:88]
	ds_store_b128 v84, v[89:92] offset:16
	ds_store_b128 v84, v[93:96] offset:32
	;; [unrolled: 1-line block ×6, first 2 shown]
	s_waitcnt lgkmcnt(0)
	s_barrier
	buffer_gl0_inv
	ds_load_b128 v[84:87], v80 offset:784
	ds_load_b128 v[88:91], v80 offset:1568
	;; [unrolled: 1-line block ×6, first 2 shown]
	s_waitcnt lgkmcnt(5)
	v_mul_f64 v[77:78], v[34:35], v[86:87]
	v_mul_f64 v[34:35], v[34:35], v[84:85]
	s_waitcnt lgkmcnt(4)
	v_mul_f64 v[81:82], v[30:31], v[90:91]
	v_mul_f64 v[30:31], v[30:31], v[88:89]
	;; [unrolled: 3-line block ×6, first 2 shown]
	v_fma_f64 v[77:78], v[32:33], v[84:85], v[77:78]
	v_fma_f64 v[32:33], v[32:33], v[86:87], -v[34:35]
	v_fma_f64 v[34:35], v[28:29], v[88:89], v[81:82]
	v_fma_f64 v[28:29], v[28:29], v[90:91], -v[30:31]
	;; [unrolled: 2-line block ×6, first 2 shown]
	v_add_f64 v[42:43], v[77:78], v[30:31]
	v_add_f64 v[81:82], v[32:33], v[36:37]
	;; [unrolled: 1-line block ×4, first 2 shown]
	v_add_f64 v[34:35], v[34:35], -v[38:39]
	v_add_f64 v[38:39], v[28:29], -v[48:49]
	v_add_f64 v[28:29], v[50:51], v[46:47]
	v_add_f64 v[48:49], v[44:45], v[40:41]
	v_add_f64 v[46:47], v[46:47], -v[50:51]
	v_add_f64 v[40:41], v[40:41], -v[44:45]
	;; [unrolled: 1-line block ×4, first 2 shown]
	v_add_f64 v[30:31], v[84:85], v[42:43]
	v_add_f64 v[36:37], v[86:87], v[81:82]
	v_add_f64 v[50:51], v[42:43], -v[28:29]
	v_add_f64 v[77:78], v[81:82], -v[48:49]
	;; [unrolled: 1-line block ×7, first 2 shown]
	v_add_f64 v[34:35], v[46:47], v[34:35]
	v_add_f64 v[38:39], v[40:41], v[38:39]
	v_add_f64 v[46:47], v[44:45], -v[46:47]
	v_add_f64 v[40:41], v[32:33], -v[40:41]
	;; [unrolled: 1-line block ×4, first 2 shown]
	v_add_f64 v[96:97], v[28:29], v[30:31]
	v_add_f64 v[36:37], v[48:49], v[36:37]
	v_add_f64 v[48:49], v[48:49], -v[86:87]
	ds_load_b128 v[28:31], v80
	v_mul_f64 v[50:51], v[50:51], s[8:9]
	v_mul_f64 v[77:78], v[77:78], s[8:9]
	v_mul_f64 v[88:89], v[88:89], s[12:13]
	v_mul_f64 v[90:91], v[90:91], s[12:13]
	v_mul_f64 v[100:101], v[92:93], s[28:29]
	v_mul_f64 v[102:103], v[94:95], s[28:29]
	v_mul_f64 v[84:85], v[98:99], s[14:15]
	v_add_f64 v[34:35], v[34:35], v[44:45]
	v_add_f64 v[32:33], v[38:39], v[32:33]
	s_waitcnt lgkmcnt(0)
	s_barrier
	buffer_gl0_inv
	v_add_f64 v[28:29], v[28:29], v[96:97]
	v_add_f64 v[30:31], v[30:31], v[36:37]
	v_mul_f64 v[86:87], v[48:49], s[14:15]
	v_fma_f64 v[38:39], v[98:99], s[14:15], v[50:51]
	v_fma_f64 v[44:45], v[48:49], s[14:15], v[77:78]
	;; [unrolled: 1-line block ×4, first 2 shown]
	v_fma_f64 v[88:89], v[92:93], s[2:3], -v[88:89]
	v_fma_f64 v[90:91], v[94:95], s[2:3], -v[90:91]
	v_fma_f64 v[46:47], v[46:47], s[22:23], v[100:101]
	v_fma_f64 v[40:41], v[40:41], s[22:23], v[102:103]
	v_fma_f64 v[50:51], v[42:43], s[20:21], -v[50:51]
	v_fma_f64 v[77:78], v[81:82], s[20:21], -v[77:78]
	;; [unrolled: 1-line block ×3, first 2 shown]
	v_fma_f64 v[92:93], v[96:97], s[16:17], v[28:29]
	v_fma_f64 v[36:37], v[36:37], s[16:17], v[30:31]
	v_fma_f64 v[81:82], v[81:82], s[18:19], -v[86:87]
	v_fma_f64 v[86:87], v[34:35], s[26:27], v[48:49]
	v_fma_f64 v[84:85], v[32:33], s[26:27], v[98:99]
	;; [unrolled: 1-line block ×6, first 2 shown]
	v_add_f64 v[96:97], v[38:39], v[92:93]
	v_add_f64 v[98:99], v[44:45], v[36:37]
	;; [unrolled: 1-line block ×7, first 2 shown]
	v_add_f64 v[34:35], v[98:99], -v[86:87]
	v_add_f64 v[36:37], v[94:95], v[50:51]
	v_add_f64 v[38:39], v[77:78], -v[90:91]
	v_add_f64 v[40:41], v[44:45], -v[88:89]
	v_add_f64 v[42:43], v[48:49], v[46:47]
	v_add_f64 v[44:45], v[88:89], v[44:45]
	v_add_f64 v[46:47], v[46:47], -v[48:49]
	v_add_f64 v[48:49], v[50:51], -v[94:95]
	v_add_f64 v[50:51], v[90:91], v[77:78]
	v_add_f64 v[84:85], v[96:97], -v[84:85]
	v_add_f64 v[86:87], v[86:87], v[98:99]
	ds_store_b128 v83, v[28:31]
	ds_store_b128 v83, v[32:35] offset:112
	ds_store_b128 v83, v[36:39] offset:224
	;; [unrolled: 1-line block ×6, first 2 shown]
	s_waitcnt lgkmcnt(0)
	s_barrier
	buffer_gl0_inv
	ds_load_b128 v[28:31], v80 offset:784
	ds_load_b128 v[32:35], v80 offset:1568
	;; [unrolled: 1-line block ×6, first 2 shown]
	s_waitcnt lgkmcnt(5)
	v_mul_f64 v[77:78], v[58:59], v[30:31]
	v_mul_f64 v[58:59], v[58:59], v[28:29]
	s_waitcnt lgkmcnt(4)
	v_mul_f64 v[81:82], v[54:55], v[34:35]
	v_mul_f64 v[54:55], v[54:55], v[32:33]
	;; [unrolled: 3-line block ×6, first 2 shown]
	v_fma_f64 v[28:29], v[56:57], v[28:29], v[77:78]
	v_fma_f64 v[30:31], v[56:57], v[30:31], -v[58:59]
	v_fma_f64 v[32:33], v[52:53], v[32:33], v[81:82]
	v_fma_f64 v[34:35], v[52:53], v[34:35], -v[54:55]
	;; [unrolled: 2-line block ×6, first 2 shown]
	v_add_f64 v[52:53], v[28:29], v[36:37]
	v_add_f64 v[54:55], v[30:31], v[38:39]
	v_add_f64 v[56:57], v[32:33], v[40:41]
	v_add_f64 v[58:59], v[34:35], v[42:43]
	v_add_f64 v[32:33], v[32:33], -v[40:41]
	v_add_f64 v[34:35], v[34:35], -v[42:43]
	v_add_f64 v[40:41], v[44:45], v[48:49]
	v_add_f64 v[42:43], v[46:47], v[50:51]
	v_add_f64 v[44:45], v[48:49], -v[44:45]
	v_add_f64 v[46:47], v[50:51], -v[46:47]
	;; [unrolled: 1-line block ×4, first 2 shown]
	v_add_f64 v[28:29], v[56:57], v[52:53]
	v_add_f64 v[30:31], v[58:59], v[54:55]
	v_add_f64 v[48:49], v[52:53], -v[40:41]
	v_add_f64 v[50:51], v[54:55], -v[42:43]
	;; [unrolled: 1-line block ×6, first 2 shown]
	v_add_f64 v[32:33], v[44:45], v[32:33]
	v_add_f64 v[34:35], v[46:47], v[34:35]
	v_add_f64 v[44:45], v[36:37], -v[44:45]
	v_add_f64 v[46:47], v[38:39], -v[46:47]
	v_add_f64 v[52:53], v[56:57], -v[52:53]
	v_add_f64 v[54:55], v[58:59], -v[54:55]
	v_add_f64 v[68:69], v[40:41], v[28:29]
	v_add_f64 v[70:71], v[42:43], v[30:31]
	v_add_f64 v[40:41], v[40:41], -v[56:57]
	v_add_f64 v[42:43], v[42:43], -v[58:59]
	ds_load_b128 v[28:31], v80
	v_mul_f64 v[48:49], v[48:49], s[8:9]
	v_mul_f64 v[50:51], v[50:51], s[8:9]
	;; [unrolled: 1-line block ×6, first 2 shown]
	v_add_f64 v[32:33], v[32:33], v[36:37]
	v_add_f64 v[34:35], v[34:35], v[38:39]
	s_waitcnt lgkmcnt(0)
	v_add_f64 v[28:29], v[28:29], v[68:69]
	v_add_f64 v[30:31], v[30:31], v[70:71]
	v_mul_f64 v[56:57], v[40:41], s[14:15]
	v_mul_f64 v[58:59], v[42:43], s[14:15]
	v_fma_f64 v[36:37], v[40:41], s[14:15], v[48:49]
	v_fma_f64 v[38:39], v[42:43], s[14:15], v[50:51]
	;; [unrolled: 1-line block ×4, first 2 shown]
	v_fma_f64 v[60:61], v[64:65], s[2:3], -v[60:61]
	v_fma_f64 v[62:63], v[66:67], s[2:3], -v[62:63]
	v_fma_f64 v[44:45], v[44:45], s[22:23], v[72:73]
	v_fma_f64 v[46:47], v[46:47], s[22:23], v[74:75]
	v_fma_f64 v[48:49], v[52:53], s[20:21], -v[48:49]
	v_fma_f64 v[50:51], v[54:55], s[20:21], -v[50:51]
	s_mov_b32 s2, 0x515a4f1d
	s_mov_b32 s3, 0x3f67e225
	v_fma_f64 v[64:65], v[68:69], s[16:17], v[28:29]
	v_fma_f64 v[66:67], v[70:71], s[16:17], v[30:31]
	v_fma_f64 v[52:53], v[52:53], s[18:19], -v[56:57]
	v_fma_f64 v[54:55], v[54:55], s[18:19], -v[58:59]
	v_fma_f64 v[56:57], v[32:33], s[26:27], v[40:41]
	v_fma_f64 v[58:59], v[34:35], s[26:27], v[42:43]
	;; [unrolled: 1-line block ×6, first 2 shown]
	v_add_f64 v[72:73], v[36:37], v[64:65]
	v_add_f64 v[74:75], v[38:39], v[66:67]
	;; [unrolled: 1-line block ×7, first 2 shown]
	v_add_f64 v[34:35], v[74:75], -v[56:57]
	v_add_f64 v[36:37], v[70:71], v[48:49]
	v_add_f64 v[38:39], v[50:51], -v[68:69]
	v_add_f64 v[40:41], v[44:45], -v[62:63]
	v_add_f64 v[42:43], v[60:61], v[46:47]
	v_add_f64 v[44:45], v[62:63], v[44:45]
	v_add_f64 v[46:47], v[46:47], -v[60:61]
	v_add_f64 v[48:49], v[48:49], -v[70:71]
	v_add_f64 v[50:51], v[68:69], v[50:51]
	v_add_f64 v[52:53], v[72:73], -v[58:59]
	v_add_f64 v[54:55], v[56:57], v[74:75]
	ds_store_b128 v80, v[28:31]
	ds_store_b128 v80, v[32:35] offset:784
	ds_store_b128 v80, v[36:39] offset:1568
	;; [unrolled: 1-line block ×6, first 2 shown]
	s_waitcnt lgkmcnt(0)
	s_barrier
	buffer_gl0_inv
	ds_load_b128 v[28:31], v80
	ds_load_b128 v[32:35], v80 offset:784
	ds_load_b128 v[36:39], v80 offset:1568
	;; [unrolled: 1-line block ×6, first 2 shown]
	v_mad_u64_u32 v[70:71], null, s6, v76, 0
	v_mad_u64_u32 v[72:73], null, s4, v79, 0
	s_mul_hi_u32 s6, s4, 0x310
	s_mulk_i32 s4, 0x310
	s_waitcnt lgkmcnt(6)
	v_mul_f64 v[56:57], v[2:3], v[30:31]
	v_mul_f64 v[2:3], v[2:3], v[28:29]
	s_waitcnt lgkmcnt(5)
	v_mul_f64 v[58:59], v[6:7], v[34:35]
	v_mul_f64 v[6:7], v[6:7], v[32:33]
	;; [unrolled: 3-line block ×7, first 2 shown]
	v_fma_f64 v[28:29], v[0:1], v[28:29], v[56:57]
	v_fma_f64 v[2:3], v[0:1], v[30:31], -v[2:3]
	v_fma_f64 v[30:31], v[4:5], v[32:33], v[58:59]
	v_fma_f64 v[6:7], v[4:5], v[34:35], -v[6:7]
	;; [unrolled: 2-line block ×7, first 2 shown]
	v_mad_u64_u32 v[4:5], null, s7, v76, v[71:72]
	v_mov_b32_e32 v0, v73
	s_delay_alu instid0(VALU_DEP_1) | instskip(NEXT) | instid1(VALU_DEP_3)
	v_mad_u64_u32 v[8:9], null, s5, v79, v[0:1]
	v_mov_b32_e32 v71, v4
	s_mulk_i32 s5, 0x310
	s_delay_alu instid0(SALU_CYCLE_1) | instskip(NEXT) | instid1(VALU_DEP_1)
	s_add_i32 s6, s6, s5
	v_lshlrev_b64 v[0:1], 4, v[70:71]
	s_delay_alu instid0(VALU_DEP_3) | instskip(NEXT) | instid1(VALU_DEP_2)
	v_mov_b32_e32 v73, v8
	v_add_co_u32 v44, vcc_lo, s0, v0
	s_delay_alu instid0(VALU_DEP_2) | instskip(NEXT) | instid1(VALU_DEP_4)
	v_lshlrev_b64 v[42:43], 4, v[72:73]
	v_add_co_ci_u32_e32 v45, vcc_lo, s1, v1, vcc_lo
	v_mul_f64 v[0:1], v[28:29], s[2:3]
	v_mul_f64 v[2:3], v[2:3], s[2:3]
	;; [unrolled: 1-line block ×14, first 2 shown]
	v_add_co_u32 v28, vcc_lo, v44, v42
	v_add_co_ci_u32_e32 v29, vcc_lo, v45, v43, vcc_lo
	s_delay_alu instid0(VALU_DEP_2) | instskip(NEXT) | instid1(VALU_DEP_2)
	v_add_co_u32 v30, vcc_lo, v28, s4
	v_add_co_ci_u32_e32 v31, vcc_lo, s6, v29, vcc_lo
	s_delay_alu instid0(VALU_DEP_2) | instskip(NEXT) | instid1(VALU_DEP_2)
	;; [unrolled: 3-line block ×6, first 2 shown]
	v_add_co_u32 v40, vcc_lo, v38, s4
	v_add_co_ci_u32_e32 v41, vcc_lo, s6, v39, vcc_lo
	s_clause 0x4
	global_store_b128 v[28:29], v[0:3], off
	global_store_b128 v[30:31], v[4:7], off
	;; [unrolled: 1-line block ×7, first 2 shown]
.LBB0_2:
	s_nop 0
	s_sendmsg sendmsg(MSG_DEALLOC_VGPRS)
	s_endpgm
	.section	.rodata,"a",@progbits
	.p2align	6, 0x0
	.amdhsa_kernel bluestein_single_fwd_len343_dim1_dp_op_CI_CI
		.amdhsa_group_segment_fixed_size 27440
		.amdhsa_private_segment_fixed_size 0
		.amdhsa_kernarg_size 104
		.amdhsa_user_sgpr_count 15
		.amdhsa_user_sgpr_dispatch_ptr 0
		.amdhsa_user_sgpr_queue_ptr 0
		.amdhsa_user_sgpr_kernarg_segment_ptr 1
		.amdhsa_user_sgpr_dispatch_id 0
		.amdhsa_user_sgpr_private_segment_size 0
		.amdhsa_wavefront_size32 1
		.amdhsa_uses_dynamic_stack 0
		.amdhsa_enable_private_segment 0
		.amdhsa_system_sgpr_workgroup_id_x 1
		.amdhsa_system_sgpr_workgroup_id_y 0
		.amdhsa_system_sgpr_workgroup_id_z 0
		.amdhsa_system_sgpr_workgroup_info 0
		.amdhsa_system_vgpr_workitem_id 0
		.amdhsa_next_free_vgpr 153
		.amdhsa_next_free_sgpr 30
		.amdhsa_reserve_vcc 1
		.amdhsa_float_round_mode_32 0
		.amdhsa_float_round_mode_16_64 0
		.amdhsa_float_denorm_mode_32 3
		.amdhsa_float_denorm_mode_16_64 3
		.amdhsa_dx10_clamp 1
		.amdhsa_ieee_mode 1
		.amdhsa_fp16_overflow 0
		.amdhsa_workgroup_processor_mode 1
		.amdhsa_memory_ordered 1
		.amdhsa_forward_progress 0
		.amdhsa_shared_vgpr_count 0
		.amdhsa_exception_fp_ieee_invalid_op 0
		.amdhsa_exception_fp_denorm_src 0
		.amdhsa_exception_fp_ieee_div_zero 0
		.amdhsa_exception_fp_ieee_overflow 0
		.amdhsa_exception_fp_ieee_underflow 0
		.amdhsa_exception_fp_ieee_inexact 0
		.amdhsa_exception_int_div_zero 0
	.end_amdhsa_kernel
	.text
.Lfunc_end0:
	.size	bluestein_single_fwd_len343_dim1_dp_op_CI_CI, .Lfunc_end0-bluestein_single_fwd_len343_dim1_dp_op_CI_CI
                                        ; -- End function
	.section	.AMDGPU.csdata,"",@progbits
; Kernel info:
; codeLenInByte = 8132
; NumSgprs: 32
; NumVgprs: 153
; ScratchSize: 0
; MemoryBound: 0
; FloatMode: 240
; IeeeMode: 1
; LDSByteSize: 27440 bytes/workgroup (compile time only)
; SGPRBlocks: 3
; VGPRBlocks: 19
; NumSGPRsForWavesPerEU: 32
; NumVGPRsForWavesPerEU: 153
; Occupancy: 8
; WaveLimiterHint : 1
; COMPUTE_PGM_RSRC2:SCRATCH_EN: 0
; COMPUTE_PGM_RSRC2:USER_SGPR: 15
; COMPUTE_PGM_RSRC2:TRAP_HANDLER: 0
; COMPUTE_PGM_RSRC2:TGID_X_EN: 1
; COMPUTE_PGM_RSRC2:TGID_Y_EN: 0
; COMPUTE_PGM_RSRC2:TGID_Z_EN: 0
; COMPUTE_PGM_RSRC2:TIDIG_COMP_CNT: 0
	.text
	.p2alignl 7, 3214868480
	.fill 96, 4, 3214868480
	.type	__hip_cuid_2198dc70e06e230d,@object ; @__hip_cuid_2198dc70e06e230d
	.section	.bss,"aw",@nobits
	.globl	__hip_cuid_2198dc70e06e230d
__hip_cuid_2198dc70e06e230d:
	.byte	0                               ; 0x0
	.size	__hip_cuid_2198dc70e06e230d, 1

	.ident	"AMD clang version 19.0.0git (https://github.com/RadeonOpenCompute/llvm-project roc-6.4.0 25133 c7fe45cf4b819c5991fe208aaa96edf142730f1d)"
	.section	".note.GNU-stack","",@progbits
	.addrsig
	.addrsig_sym __hip_cuid_2198dc70e06e230d
	.amdgpu_metadata
---
amdhsa.kernels:
  - .args:
      - .actual_access:  read_only
        .address_space:  global
        .offset:         0
        .size:           8
        .value_kind:     global_buffer
      - .actual_access:  read_only
        .address_space:  global
        .offset:         8
        .size:           8
        .value_kind:     global_buffer
      - .actual_access:  read_only
        .address_space:  global
        .offset:         16
        .size:           8
        .value_kind:     global_buffer
      - .actual_access:  read_only
        .address_space:  global
        .offset:         24
        .size:           8
        .value_kind:     global_buffer
      - .actual_access:  read_only
        .address_space:  global
        .offset:         32
        .size:           8
        .value_kind:     global_buffer
      - .offset:         40
        .size:           8
        .value_kind:     by_value
      - .address_space:  global
        .offset:         48
        .size:           8
        .value_kind:     global_buffer
      - .address_space:  global
        .offset:         56
        .size:           8
        .value_kind:     global_buffer
      - .address_space:  global
        .offset:         64
        .size:           8
        .value_kind:     global_buffer
      - .address_space:  global
        .offset:         72
        .size:           8
        .value_kind:     global_buffer
      - .offset:         80
        .size:           4
        .value_kind:     by_value
      - .address_space:  global
        .offset:         88
        .size:           8
        .value_kind:     global_buffer
      - .address_space:  global
        .offset:         96
        .size:           8
        .value_kind:     global_buffer
    .group_segment_fixed_size: 27440
    .kernarg_segment_align: 8
    .kernarg_segment_size: 104
    .language:       OpenCL C
    .language_version:
      - 2
      - 0
    .max_flat_workgroup_size: 245
    .name:           bluestein_single_fwd_len343_dim1_dp_op_CI_CI
    .private_segment_fixed_size: 0
    .sgpr_count:     32
    .sgpr_spill_count: 0
    .symbol:         bluestein_single_fwd_len343_dim1_dp_op_CI_CI.kd
    .uniform_work_group_size: 1
    .uses_dynamic_stack: false
    .vgpr_count:     153
    .vgpr_spill_count: 0
    .wavefront_size: 32
    .workgroup_processor_mode: 1
amdhsa.target:   amdgcn-amd-amdhsa--gfx1100
amdhsa.version:
  - 1
  - 2
...

	.end_amdgpu_metadata
